;; amdgpu-corpus repo=zjin-lcf/HeCBench kind=compiled arch=gfx906 opt=O3
	.amdgcn_target "amdgcn-amd-amdhsa--gfx906"
	.amdhsa_code_object_version 6
	.section	.text._Z14welford_kernelIfffEvPKT_PT1_S4_iii,"axG",@progbits,_Z14welford_kernelIfffEvPKT_PT1_S4_iii,comdat
	.protected	_Z14welford_kernelIfffEvPKT_PT1_S4_iii ; -- Begin function _Z14welford_kernelIfffEvPKT_PT1_S4_iii
	.globl	_Z14welford_kernelIfffEvPKT_PT1_S4_iii
	.p2align	8
	.type	_Z14welford_kernelIfffEvPKT_PT1_S4_iii,@function
_Z14welford_kernelIfffEvPKT_PT1_S4_iii: ; @_Z14welford_kernelIfffEvPKT_PT1_S4_iii
; %bb.0:
	s_load_dword s0, s[4:5], 0x34
	s_load_dwordx8 s[8:15], s[4:5], 0x8
	v_mov_b32_e32 v4, 0
	v_mov_b32_e32 v2, 0
	;; [unrolled: 1-line block ×3, first 2 shown]
	s_waitcnt lgkmcnt(0)
	s_lshr_b32 s15, s0, 16
	s_and_b32 s7, s0, 0xffff
	v_cmp_gt_i32_e32 vcc, s12, v1
	s_and_saveexec_b64 s[2:3], vcc
	s_cbranch_execz .LBB0_8
; %bb.1:
	v_mul_lo_u32 v2, v1, s13
	s_load_dwordx2 s[4:5], s[4:5], 0x0
	s_mul_i32 s13, s14, s13
	v_cmp_gt_i32_e64 s[0:1], s14, v0
	v_add_u32_e32 v2, s6, v2
	v_mul_lo_u32 v5, s14, v2
	s_mul_i32 s13, s13, s15
	v_mov_b32_e32 v4, 0
	v_mov_b32_e32 v2, 0
	s_mov_b64 s[16:17], 0
	v_mov_b32_e32 v3, 0
	v_mov_b32_e32 v6, v1
	s_branch .LBB0_3
.LBB0_2:                                ;   in Loop: Header=BB0_3 Depth=1
	s_or_b64 exec, exec, s[18:19]
	v_add_u32_e32 v6, s15, v6
	v_cmp_le_i32_e32 vcc, s12, v6
	s_or_b64 s[16:17], vcc, s[16:17]
	v_add_u32_e32 v5, s13, v5
	s_andn2_b64 exec, exec, s[16:17]
	s_cbranch_execz .LBB0_7
.LBB0_3:                                ; =>This Loop Header: Depth=1
                                        ;     Child Loop BB0_5 Depth 2
	s_and_saveexec_b64 s[18:19], s[0:1]
	s_cbranch_execz .LBB0_2
; %bb.4:                                ;   in Loop: Header=BB0_3 Depth=1
	s_mov_b64 s[20:21], 0
	v_mov_b32_e32 v7, v0
.LBB0_5:                                ;   Parent Loop BB0_3 Depth=1
                                        ; =>  This Inner Loop Header: Depth=2
	v_add_u32_e32 v8, v5, v7
	v_ashrrev_i32_e32 v9, 31, v8
	v_lshlrev_b64 v[8:9], 2, v[8:9]
	s_waitcnt lgkmcnt(0)
	v_mov_b32_e32 v10, s5
	v_add_co_u32_e32 v8, vcc, s4, v8
	v_addc_co_u32_e32 v9, vcc, v10, v9, vcc
	global_load_dword v8, v[8:9], off
	v_add_u32_e32 v4, 1, v4
	v_cvt_f32_i32_e32 v9, v4
	v_add_u32_e32 v7, s7, v7
	s_waitcnt vmcnt(0)
	v_sub_f32_e32 v10, v8, v2
	v_div_scale_f32 v11, s[22:23], v9, v9, v10
	v_div_scale_f32 v12, vcc, v10, v9, v10
	v_rcp_f32_e32 v13, v11
	v_fma_f32 v14, -v11, v13, 1.0
	v_fmac_f32_e32 v13, v14, v13
	v_mul_f32_e32 v14, v12, v13
	v_fma_f32 v15, -v11, v14, v12
	v_fmac_f32_e32 v14, v15, v13
	v_fma_f32 v11, -v11, v14, v12
	v_div_fmas_f32 v11, v11, v13, v14
	v_cmp_le_i32_e32 vcc, s14, v7
	s_or_b64 s[20:21], vcc, s[20:21]
	v_div_fixup_f32 v9, v11, v9, v10
	v_add_f32_e32 v2, v2, v9
	v_sub_f32_e32 v8, v8, v2
	v_fmac_f32_e32 v3, v10, v8
	s_andn2_b64 exec, exec, s[20:21]
	s_cbranch_execnz .LBB0_5
; %bb.6:                                ;   in Loop: Header=BB0_3 Depth=1
	s_or_b64 exec, exec, s[20:21]
	s_branch .LBB0_2
.LBB0_7:
	s_or_b64 exec, exec, s[16:17]
.LBB0_8:
	s_or_b64 exec, exec, s[2:3]
	s_mul_i32 s2, s15, s7
	v_mad_u32_u24 v0, v1, s7, v0
	s_cmpk_lt_i32 s2, 0x41
	v_mbcnt_lo_u32_b32 v1, -1, 0
	s_cbranch_scc1 .LBB0_16
; %bb.9:
	v_mbcnt_hi_u32_b32 v5, -1, v1
	v_mov_b32_e32 v6, 0x80
	v_lshl_or_b32 v7, v5, 2, v6
	ds_bpermute_b32 v8, v7, v4
	s_waitcnt lgkmcnt(0)
	v_add_u32_e32 v9, v8, v4
	v_max_i32_e32 v6, 1, v9
	v_cvt_f32_u32_e32 v10, v6
	v_and_b32_e32 v6, 63, v5
	v_cvt_f32_i32_e32 v8, v8
	v_cvt_f32_i32_e32 v4, v4
	v_div_scale_f32 v11, s[0:1], v10, v10, 1.0
	v_div_scale_f32 v12, vcc, 1.0, v10, 1.0
	v_cmp_gt_u32_e64 s[0:1], 48, v6
	v_cndmask_b32_e64 v13, 0, 16, s[0:1]
	v_add_lshl_u32 v13, v13, v5, 2
	ds_bpermute_b32 v14, v13, v9
	s_waitcnt lgkmcnt(0)
	v_add_u32_e32 v16, v14, v9
	v_max_i32_e32 v17, 1, v16
	v_cvt_f32_u32_e32 v17, v17
	v_cvt_f32_i32_e32 v14, v14
	v_rcp_f32_e32 v15, v11
	v_cvt_f32_i32_e32 v9, v9
	v_fma_f32 v18, -v11, v15, 1.0
	v_fmac_f32_e32 v15, v18, v15
	v_mul_f32_e32 v18, v12, v15
	v_fma_f32 v19, -v11, v18, v12
	v_fmac_f32_e32 v18, v19, v15
	v_div_scale_f32 v19, s[0:1], v17, v17, 1.0
	v_fma_f32 v11, -v11, v18, v12
	v_div_scale_f32 v12, s[0:1], 1.0, v17, 1.0
	v_div_fmas_f32 v11, v11, v15, v18
	s_mov_b64 vcc, s[0:1]
	v_rcp_f32_e32 v15, v19
	v_fma_f32 v18, -v19, v15, 1.0
	v_fmac_f32_e32 v15, v18, v15
	v_mul_f32_e32 v18, v12, v15
	v_fma_f32 v20, -v19, v18, v12
	v_fmac_f32_e32 v18, v20, v15
	v_fma_f32 v12, -v19, v18, v12
	ds_bpermute_b32 v19, v7, v2
	v_div_fmas_f32 v12, v12, v15, v18
	v_cmp_gt_u32_e32 vcc, 56, v6
	v_cndmask_b32_e64 v15, 0, 8, vcc
	v_add_lshl_u32 v15, v15, v5, 2
	s_waitcnt lgkmcnt(0)
	v_sub_f32_e32 v18, v2, v19
	v_mul_f32_e32 v18, v18, v18
	v_mul_f32_e32 v19, v8, v19
	;; [unrolled: 1-line block ×3, first 2 shown]
	ds_bpermute_b32 v18, v15, v16
	v_fmac_f32_e32 v19, v2, v4
	ds_bpermute_b32 v7, v7, v3
	v_mul_f32_e32 v4, v8, v4
	v_div_fixup_f32 v8, v11, v10, 1.0
	s_waitcnt lgkmcnt(1)
	v_add_u32_e32 v2, v18, v16
	v_max_i32_e32 v10, 1, v2
	v_cvt_f32_u32_e32 v10, v10
	s_waitcnt lgkmcnt(0)
	v_fmac_f32_e32 v7, v8, v4
	v_add_f32_e32 v7, v3, v7
	v_mul_f32_e32 v3, v8, v19
	v_div_scale_f32 v4, s[0:1], v10, v10, 1.0
	ds_bpermute_b32 v11, v13, v3
	v_div_fixup_f32 v12, v12, v17, 1.0
	ds_bpermute_b32 v13, v13, v7
	v_cvt_f32_i32_e32 v18, v18
	v_cvt_f32_i32_e32 v16, v16
	s_waitcnt lgkmcnt(1)
	v_fma_f32 v8, v8, v19, -v11
	v_mul_f32_e32 v11, v14, v11
	v_fmac_f32_e32 v11, v3, v9
	v_mul_f32_e32 v3, v8, v8
	v_mul_f32_e32 v8, v3, v14
	;; [unrolled: 1-line block ×3, first 2 shown]
	s_waitcnt lgkmcnt(0)
	v_fmac_f32_e32 v13, v12, v8
	v_add_f32_e32 v7, v7, v13
	v_mul_f32_e32 v13, v12, v11
	v_rcp_f32_e32 v17, v4
	v_fma_f32 v19, -v4, v17, 1.0
	v_fmac_f32_e32 v17, v19, v17
	v_div_scale_f32 v19, vcc, 1.0, v10, 1.0
	v_mul_f32_e32 v20, v19, v17
	v_fma_f32 v21, -v4, v20, v19
	v_fmac_f32_e32 v20, v21, v17
	v_fma_f32 v4, -v4, v20, v19
	v_div_fmas_f32 v4, v4, v17, v20
	v_cmp_gt_u32_e32 vcc, 60, v6
	v_cndmask_b32_e64 v17, 0, 4, vcc
	v_add_lshl_u32 v17, v17, v5, 2
	ds_bpermute_b32 v19, v17, v2
	s_waitcnt lgkmcnt(0)
	v_add_u32_e32 v3, v19, v2
	v_max_i32_e32 v14, 1, v3
	v_cvt_f32_u32_e32 v14, v14
	v_cvt_f32_i32_e32 v2, v2
	v_div_scale_f32 v9, s[0:1], v14, v14, 1.0
	v_div_scale_f32 v8, vcc, 1.0, v14, 1.0
	v_div_fixup_f32 v4, v4, v10, 1.0
	ds_bpermute_b32 v10, v15, v13
	v_cmp_gt_u32_e64 s[0:1], 62, v6
	ds_bpermute_b32 v15, v15, v7
	s_waitcnt lgkmcnt(1)
	v_fma_f32 v11, v12, v11, -v10
	v_mul_f32_e32 v10, v18, v10
	v_fmac_f32_e32 v10, v13, v16
	v_mul_f32_e32 v11, v11, v11
	v_mul_f32_e32 v11, v11, v18
	;; [unrolled: 1-line block ×3, first 2 shown]
	v_rcp_f32_e32 v12, v9
	s_waitcnt lgkmcnt(0)
	v_fmac_f32_e32 v15, v4, v11
	v_mul_f32_e32 v11, v4, v10
	v_add_f32_e32 v7, v7, v15
	v_fma_f32 v13, -v9, v12, 1.0
	v_fmac_f32_e32 v12, v13, v12
	v_mul_f32_e32 v13, v8, v12
	v_fma_f32 v18, -v9, v13, v8
	v_fmac_f32_e32 v13, v18, v12
	v_fma_f32 v8, -v9, v13, v8
	v_cndmask_b32_e64 v9, 0, 2, s[0:1]
	v_add_lshl_u32 v9, v9, v5, 2
	ds_bpermute_b32 v18, v9, v3
	v_div_fmas_f32 v8, v8, v12, v13
	ds_bpermute_b32 v15, v17, v11
	ds_bpermute_b32 v17, v17, v7
	s_waitcnt lgkmcnt(2)
	v_add_u32_e32 v12, v18, v3
	v_max_i32_e32 v13, 1, v12
	v_cvt_f32_u32_e32 v13, v13
	s_waitcnt lgkmcnt(1)
	v_fma_f32 v10, v4, v10, -v15
	v_mul_f32_e32 v10, v10, v10
	v_cvt_f32_i32_e32 v3, v3
	v_div_scale_f32 v16, s[0:1], v13, v13, 1.0
	v_cmp_ne_u32_e64 s[0:1], 63, v6
	v_addc_co_u32_e64 v5, s[0:1], 0, v5, s[0:1]
	v_lshlrev_b32_e32 v6, 2, v5
	v_div_fixup_f32 v8, v8, v14, 1.0
	v_cvt_f32_i32_e32 v5, v19
	v_mul_f32_e32 v15, v5, v15
	v_fmac_f32_e32 v15, v11, v2
	v_mul_f32_e32 v5, v10, v5
	v_mul_f32_e32 v2, v5, v2
	s_waitcnt lgkmcnt(0)
	v_fmac_f32_e32 v17, v8, v2
	v_rcp_f32_e32 v14, v16
	v_add_f32_e32 v2, v7, v17
	v_cvt_f32_i32_e32 v17, v18
	v_fma_f32 v4, -v16, v14, 1.0
	v_fmac_f32_e32 v14, v4, v14
	v_div_scale_f32 v4, vcc, 1.0, v13, 1.0
	v_mul_f32_e32 v20, v4, v14
	v_fma_f32 v21, -v16, v20, v4
	v_fmac_f32_e32 v20, v21, v14
	v_fma_f32 v4, -v16, v20, v4
	ds_bpermute_b32 v16, v6, v12
	v_div_fmas_f32 v14, v4, v14, v20
	s_waitcnt lgkmcnt(0)
	v_add_u32_e32 v4, v16, v12
	v_max_i32_e32 v19, 1, v4
	v_cvt_f32_u32_e32 v19, v19
	v_div_scale_f32 v11, s[0:1], v19, v19, 1.0
	v_div_scale_f32 v10, vcc, 1.0, v19, 1.0
	v_div_fixup_f32 v13, v14, v13, 1.0
	v_rcp_f32_e32 v20, v11
	v_fma_f32 v5, -v11, v20, 1.0
	v_fmac_f32_e32 v20, v5, v20
	v_mul_f32_e32 v7, v10, v20
	v_fma_f32 v5, -v11, v7, v10
	v_fmac_f32_e32 v7, v5, v20
	v_fma_f32 v10, -v11, v7, v10
	v_mul_f32_e32 v11, v8, v15
	v_div_fmas_f32 v7, v10, v20, v7
	ds_bpermute_b32 v10, v9, v11
	ds_bpermute_b32 v9, v9, v2
	v_and_b32_e32 v5, 63, v0
	v_cmp_eq_u32_e32 vcc, 0, v5
	s_waitcnt lgkmcnt(1)
	v_fma_f32 v8, v8, v15, -v10
	v_mul_f32_e32 v8, v8, v8
	v_mul_f32_e32 v10, v17, v10
	;; [unrolled: 1-line block ×3, first 2 shown]
	v_fmac_f32_e32 v10, v11, v3
	v_mul_f32_e32 v3, v8, v3
	v_mul_f32_e32 v11, v13, v10
	s_waitcnt lgkmcnt(0)
	v_fmac_f32_e32 v9, v13, v3
	v_add_f32_e32 v3, v2, v9
	ds_bpermute_b32 v2, v6, v11
	v_cvt_f32_i32_e32 v8, v16
	ds_bpermute_b32 v6, v6, v3
	v_cvt_f32_i32_e32 v9, v12
	v_div_fixup_f32 v7, v7, v19, 1.0
	s_waitcnt lgkmcnt(1)
	v_fma_f32 v10, v13, v10, -v2
	v_mul_f32_e32 v10, v10, v10
	v_mul_f32_e32 v2, v8, v2
	;; [unrolled: 1-line block ×4, first 2 shown]
	v_fmac_f32_e32 v2, v11, v9
	s_waitcnt lgkmcnt(0)
	v_fmac_f32_e32 v6, v7, v8
	v_mul_f32_e32 v2, v7, v2
	v_add_f32_e32 v3, v3, v6
	s_and_saveexec_b64 s[0:1], vcc
	s_cbranch_execz .LBB0_11
; %bb.10:
	v_lshrrev_b32_e32 v6, 3, v0
	v_lshrrev_b32_e32 v7, 4, v0
	ds_write2_b32 v6, v2, v3 offset0:64 offset1:65
	ds_write_b32 v7, v4
.LBB0_11:
	s_or_b64 exec, exec, s[0:1]
	v_cmp_gt_u32_e32 vcc, 64, v0
	s_waitcnt lgkmcnt(0)
	s_barrier
	s_and_saveexec_b64 s[0:1], vcc
	s_cbranch_execz .LBB0_15
; %bb.12:
	s_lshr_b32 s2, s2, 6
	v_cmp_gt_u32_e32 vcc, s2, v0
	v_mov_b32_e32 v4, 0
	v_mov_b32_e32 v3, 0
	;; [unrolled: 1-line block ×3, first 2 shown]
	s_and_saveexec_b64 s[2:3], vcc
	s_cbranch_execz .LBB0_14
; %bb.13:
	v_lshlrev_b32_e32 v4, 2, v5
	v_lshlrev_b32_e32 v2, 3, v0
	ds_read_b64 v[2:3], v2 offset:256
	ds_read_b32 v4, v4
.LBB0_14:
	s_or_b64 exec, exec, s[2:3]
.LBB0_15:
	s_or_b64 exec, exec, s[0:1]
.LBB0_16:
	v_cmp_gt_u32_e32 vcc, 64, v0
	s_and_saveexec_b64 s[2:3], vcc
	s_cbranch_execz .LBB0_18
; %bb.17:
	v_mbcnt_hi_u32_b32 v1, -1, v1
	v_mov_b32_e32 v5, 0x80
	v_lshl_or_b32 v7, v1, 2, v5
	s_waitcnt lgkmcnt(0)
	ds_bpermute_b32 v8, v7, v4
	ds_bpermute_b32 v11, v7, v2
	;; [unrolled: 1-line block ×3, first 2 shown]
	s_waitcnt lgkmcnt(2)
	v_add_u32_e32 v6, v8, v4
	v_max_i32_e32 v5, 1, v6
	v_cvt_f32_u32_e32 v9, v5
	v_and_b32_e32 v5, 63, v1
	v_cmp_gt_u32_e32 vcc, 48, v5
	v_cndmask_b32_e64 v12, 0, 16, vcc
	v_div_scale_f32 v10, s[0:1], v9, v9, 1.0
	v_add_lshl_u32 v12, v12, v1, 2
	v_div_scale_f32 v13, vcc, 1.0, v9, 1.0
	ds_bpermute_b32 v14, v12, v6
	v_cvt_f32_i32_e32 v8, v8
	s_waitcnt lgkmcnt(2)
	v_sub_f32_e32 v15, v2, v11
	v_mul_f32_e32 v15, v15, v15
	v_cvt_f32_i32_e32 v4, v4
	s_waitcnt lgkmcnt(0)
	v_add_u32_e32 v16, v14, v6
	v_max_i32_e32 v17, 1, v16
	v_cvt_f32_u32_e32 v17, v17
	v_mul_f32_e32 v11, v8, v11
	v_mul_f32_e32 v8, v15, v8
	v_fmac_f32_e32 v11, v2, v4
	v_rcp_f32_e32 v18, v10
	v_div_scale_f32 v15, s[0:1], v17, v17, 1.0
	v_mul_f32_e32 v2, v8, v4
	v_fma_f32 v19, -v10, v18, 1.0
	v_fmac_f32_e32 v18, v19, v18
	v_mul_f32_e32 v19, v13, v18
	v_fma_f32 v20, -v10, v19, v13
	v_fmac_f32_e32 v19, v20, v18
	v_div_scale_f32 v20, s[0:1], 1.0, v17, 1.0
	v_fma_f32 v10, -v10, v19, v13
	v_div_fmas_f32 v10, v10, v18, v19
	v_cmp_gt_u32_e32 vcc, 56, v5
	v_cvt_f32_i32_e32 v14, v14
	v_cvt_f32_i32_e32 v6, v6
	v_rcp_f32_e32 v13, v15
	v_fma_f32 v18, -v15, v13, 1.0
	v_fmac_f32_e32 v13, v18, v13
	v_mul_f32_e32 v18, v20, v13
	v_fma_f32 v19, -v15, v18, v20
	v_fmac_f32_e32 v18, v19, v13
	v_cndmask_b32_e64 v19, 0, 8, vcc
	v_add_lshl_u32 v19, v19, v1, 2
	v_fma_f32 v15, -v15, v18, v20
	ds_bpermute_b32 v20, v19, v16
	s_mov_b64 vcc, s[0:1]
	v_div_fmas_f32 v13, v15, v13, v18
	v_div_fixup_f32 v9, v10, v9, 1.0
	v_fmac_f32_e32 v7, v9, v2
	s_waitcnt lgkmcnt(0)
	v_add_u32_e32 v15, v20, v16
	v_max_i32_e32 v18, 1, v15
	v_cvt_f32_u32_e32 v18, v18
	v_mul_f32_e32 v8, v9, v11
	ds_bpermute_b32 v21, v12, v8
	v_add_f32_e32 v7, v3, v7
	v_div_scale_f32 v10, s[0:1], v18, v18, 1.0
	v_div_scale_f32 v4, vcc, 1.0, v18, 1.0
	s_waitcnt lgkmcnt(0)
	v_fma_f32 v9, v9, v11, -v21
	v_cmp_gt_u32_e64 s[0:1], 60, v5
	v_mul_f32_e32 v9, v9, v9
	v_div_fixup_f32 v13, v13, v17, 1.0
	v_mul_f32_e32 v17, v14, v21
	v_fmac_f32_e32 v17, v8, v6
	ds_bpermute_b32 v12, v12, v7
	v_mul_f32_e32 v9, v9, v14
	v_mul_f32_e32 v6, v9, v6
	v_mul_f32_e32 v14, v13, v17
	v_cvt_f32_i32_e32 v16, v16
	s_waitcnt lgkmcnt(0)
	v_fmac_f32_e32 v12, v13, v6
	v_rcp_f32_e32 v2, v10
	v_add_f32_e32 v6, v7, v12
	ds_bpermute_b32 v7, v19, v14
	ds_bpermute_b32 v12, v19, v6
	v_fma_f32 v3, -v10, v2, 1.0
	v_fmac_f32_e32 v2, v3, v2
	v_mul_f32_e32 v11, v4, v2
	v_fma_f32 v3, -v10, v11, v4
	v_fmac_f32_e32 v11, v3, v2
	v_cndmask_b32_e64 v3, 0, 4, s[0:1]
	v_add_lshl_u32 v3, v3, v1, 2
	v_fma_f32 v4, -v10, v11, v4
	ds_bpermute_b32 v10, v3, v15
	v_div_fmas_f32 v4, v4, v2, v11
	s_waitcnt lgkmcnt(2)
	v_fma_f32 v13, v13, v17, -v7
	v_mul_f32_e32 v13, v13, v13
	s_waitcnt lgkmcnt(0)
	v_add_u32_e32 v2, v10, v15
	v_max_i32_e32 v11, 1, v2
	v_cvt_f32_u32_e32 v11, v11
	v_cvt_f32_i32_e32 v10, v10
	v_div_scale_f32 v8, s[0:1], v11, v11, 1.0
	v_div_scale_f32 v9, vcc, 1.0, v11, 1.0
	v_div_fixup_f32 v4, v4, v18, 1.0
	v_cvt_f32_i32_e32 v18, v20
	v_mul_f32_e32 v13, v13, v18
	v_mul_f32_e32 v13, v13, v16
	v_mul_f32_e32 v7, v18, v7
	v_fmac_f32_e32 v12, v4, v13
	v_fmac_f32_e32 v7, v14, v16
	v_rcp_f32_e32 v17, v8
	v_mul_f32_e32 v14, v4, v7
	ds_bpermute_b32 v18, v3, v14
	v_add_f32_e32 v6, v6, v12
	v_fma_f32 v19, -v8, v17, 1.0
	v_fmac_f32_e32 v17, v19, v17
	v_mul_f32_e32 v19, v9, v17
	v_fma_f32 v20, -v8, v19, v9
	v_fmac_f32_e32 v19, v20, v17
	v_fma_f32 v8, -v8, v19, v9
	v_div_fmas_f32 v8, v8, v17, v19
	v_cmp_gt_u32_e32 vcc, 62, v5
	v_cndmask_b32_e64 v9, 0, 2, vcc
	v_add_lshl_u32 v9, v9, v1, 2
	ds_bpermute_b32 v17, v9, v2
	s_waitcnt lgkmcnt(1)
	v_fma_f32 v4, v4, v7, -v18
	v_mul_f32_e32 v4, v4, v4
	v_mul_f32_e32 v7, v10, v18
	;; [unrolled: 1-line block ×3, first 2 shown]
	s_waitcnt lgkmcnt(0)
	v_add_u32_e32 v13, v17, v2
	v_max_i32_e32 v16, 1, v13
	v_cvt_f32_u32_e32 v16, v16
	ds_bpermute_b32 v3, v3, v6
	v_cvt_f32_i32_e32 v2, v2
	v_div_scale_f32 v19, s[0:1], v16, v16, 1.0
	v_cmp_ne_u32_e64 s[0:1], 63, v5
	v_addc_co_u32_e64 v1, s[0:1], 0, v1, s[0:1]
	v_div_scale_f32 v12, vcc, 1.0, v16, 1.0
	v_lshlrev_b32_e32 v1, 2, v1
	ds_bpermute_b32 v5, v1, v13
	v_div_fixup_f32 v8, v8, v11, 1.0
	v_cvt_f32_i32_e32 v11, v15
	s_waitcnt lgkmcnt(0)
	v_add_u32_e32 v4, v5, v13
	v_max_i32_e32 v15, 1, v4
	v_cvt_f32_u32_e32 v15, v15
	v_fmac_f32_e32 v7, v14, v11
	v_rcp_f32_e32 v14, v19
	v_mul_f32_e32 v10, v10, v11
	v_div_scale_f32 v18, s[0:1], v15, v15, 1.0
	v_fma_f32 v11, -v19, v14, 1.0
	v_fmac_f32_e32 v14, v11, v14
	v_mul_f32_e32 v11, v12, v14
	v_fma_f32 v20, -v19, v11, v12
	v_fmac_f32_e32 v11, v20, v14
	v_div_scale_f32 v20, s[0:1], 1.0, v15, 1.0
	v_fma_f32 v12, -v19, v11, v12
	v_fmac_f32_e32 v3, v8, v10
	v_div_fmas_f32 v11, v12, v14, v11
	v_add_f32_e32 v3, v6, v3
	v_cvt_f32_i32_e32 v12, v17
	v_mul_f32_e32 v19, v8, v7
	ds_bpermute_b32 v10, v9, v19
	v_rcp_f32_e32 v6, v18
	s_mov_b64 vcc, s[0:1]
	ds_bpermute_b32 v9, v9, v3
	v_cvt_f32_i32_e32 v5, v5
	v_fma_f32 v14, -v18, v6, 1.0
	v_fmac_f32_e32 v6, v14, v6
	s_waitcnt lgkmcnt(1)
	v_fma_f32 v7, v8, v7, -v10
	v_mul_f32_e32 v14, v20, v6
	v_fma_f32 v17, -v18, v14, v20
	v_fmac_f32_e32 v14, v17, v6
	v_fma_f32 v17, -v18, v14, v20
	v_div_fmas_f32 v6, v17, v6, v14
	v_mul_f32_e32 v8, v12, v10
	v_mul_f32_e32 v7, v7, v7
	v_div_fixup_f32 v11, v11, v16, 1.0
	v_fmac_f32_e32 v8, v19, v2
	v_mul_f32_e32 v7, v7, v12
	v_mul_f32_e32 v10, v11, v8
	;; [unrolled: 1-line block ×3, first 2 shown]
	s_waitcnt lgkmcnt(0)
	v_fmac_f32_e32 v9, v11, v2
	ds_bpermute_b32 v2, v1, v10
	v_add_f32_e32 v3, v3, v9
	ds_bpermute_b32 v1, v1, v3
	v_cvt_f32_i32_e32 v7, v13
	s_waitcnt lgkmcnt(1)
	v_fma_f32 v8, v11, v8, -v2
	v_mul_f32_e32 v8, v8, v8
	v_mul_f32_e32 v2, v5, v2
	;; [unrolled: 1-line block ×3, first 2 shown]
	v_div_fixup_f32 v6, v6, v15, 1.0
	v_mul_f32_e32 v5, v5, v7
	v_fmac_f32_e32 v2, v10, v7
	s_waitcnt lgkmcnt(0)
	v_fmac_f32_e32 v1, v6, v5
	v_mul_f32_e32 v2, v6, v2
	v_add_f32_e32 v3, v3, v1
.LBB0_18:
	s_or_b64 exec, exec, s[2:3]
	s_mov_b32 s7, 0
	v_cmp_eq_u32_e32 vcc, 0, v0
	s_and_saveexec_b64 s[0:1], vcc
	s_cbranch_execz .LBB0_20
; %bb.19:
	s_waitcnt lgkmcnt(0)
	v_cvt_f32_i32_e32 v0, v4
	v_div_scale_f32 v1, s[0:1], v0, v0, v3
	v_div_scale_f32 v4, vcc, v3, v0, v3
	s_lshl_b64 s[0:1], s[6:7], 2
	s_add_u32 s2, s8, s0
	s_addc_u32 s3, s9, s1
	s_add_u32 s0, s10, s0
	s_addc_u32 s1, s11, s1
	v_rcp_f32_e32 v5, v1
	v_fma_f32 v6, -v1, v5, 1.0
	v_fmac_f32_e32 v5, v6, v5
	v_mul_f32_e32 v6, v4, v5
	v_fma_f32 v7, -v1, v6, v4
	v_fmac_f32_e32 v6, v7, v5
	v_fma_f32 v1, -v1, v6, v4
	v_div_fmas_f32 v1, v1, v5, v6
	v_mov_b32_e32 v4, 0
	global_store_dword v4, v2, s[2:3]
	v_div_fixup_f32 v0, v1, v0, v3
	global_store_dword v4, v0, s[0:1]
.LBB0_20:
	s_endpgm
	.section	.rodata,"a",@progbits
	.p2align	6, 0x0
	.amdhsa_kernel _Z14welford_kernelIfffEvPKT_PT1_S4_iii
		.amdhsa_group_segment_fixed_size 640
		.amdhsa_private_segment_fixed_size 0
		.amdhsa_kernarg_size 296
		.amdhsa_user_sgpr_count 6
		.amdhsa_user_sgpr_private_segment_buffer 1
		.amdhsa_user_sgpr_dispatch_ptr 0
		.amdhsa_user_sgpr_queue_ptr 0
		.amdhsa_user_sgpr_kernarg_segment_ptr 1
		.amdhsa_user_sgpr_dispatch_id 0
		.amdhsa_user_sgpr_flat_scratch_init 0
		.amdhsa_user_sgpr_private_segment_size 0
		.amdhsa_uses_dynamic_stack 0
		.amdhsa_system_sgpr_private_segment_wavefront_offset 0
		.amdhsa_system_sgpr_workgroup_id_x 1
		.amdhsa_system_sgpr_workgroup_id_y 0
		.amdhsa_system_sgpr_workgroup_id_z 0
		.amdhsa_system_sgpr_workgroup_info 0
		.amdhsa_system_vgpr_workitem_id 1
		.amdhsa_next_free_vgpr 22
		.amdhsa_next_free_sgpr 24
		.amdhsa_reserve_vcc 1
		.amdhsa_reserve_flat_scratch 0
		.amdhsa_float_round_mode_32 0
		.amdhsa_float_round_mode_16_64 0
		.amdhsa_float_denorm_mode_32 3
		.amdhsa_float_denorm_mode_16_64 3
		.amdhsa_dx10_clamp 1
		.amdhsa_ieee_mode 1
		.amdhsa_fp16_overflow 0
		.amdhsa_exception_fp_ieee_invalid_op 0
		.amdhsa_exception_fp_denorm_src 0
		.amdhsa_exception_fp_ieee_div_zero 0
		.amdhsa_exception_fp_ieee_overflow 0
		.amdhsa_exception_fp_ieee_underflow 0
		.amdhsa_exception_fp_ieee_inexact 0
		.amdhsa_exception_int_div_zero 0
	.end_amdhsa_kernel
	.section	.text._Z14welford_kernelIfffEvPKT_PT1_S4_iii,"axG",@progbits,_Z14welford_kernelIfffEvPKT_PT1_S4_iii,comdat
.Lfunc_end0:
	.size	_Z14welford_kernelIfffEvPKT_PT1_S4_iii, .Lfunc_end0-_Z14welford_kernelIfffEvPKT_PT1_S4_iii
                                        ; -- End function
	.set _Z14welford_kernelIfffEvPKT_PT1_S4_iii.num_vgpr, 22
	.set _Z14welford_kernelIfffEvPKT_PT1_S4_iii.num_agpr, 0
	.set _Z14welford_kernelIfffEvPKT_PT1_S4_iii.numbered_sgpr, 24
	.set _Z14welford_kernelIfffEvPKT_PT1_S4_iii.num_named_barrier, 0
	.set _Z14welford_kernelIfffEvPKT_PT1_S4_iii.private_seg_size, 0
	.set _Z14welford_kernelIfffEvPKT_PT1_S4_iii.uses_vcc, 1
	.set _Z14welford_kernelIfffEvPKT_PT1_S4_iii.uses_flat_scratch, 0
	.set _Z14welford_kernelIfffEvPKT_PT1_S4_iii.has_dyn_sized_stack, 0
	.set _Z14welford_kernelIfffEvPKT_PT1_S4_iii.has_recursion, 0
	.set _Z14welford_kernelIfffEvPKT_PT1_S4_iii.has_indirect_call, 0
	.section	.AMDGPU.csdata,"",@progbits
; Kernel info:
; codeLenInByte = 2932
; TotalNumSgprs: 28
; NumVgprs: 22
; ScratchSize: 0
; MemoryBound: 0
; FloatMode: 240
; IeeeMode: 1
; LDSByteSize: 640 bytes/workgroup (compile time only)
; SGPRBlocks: 3
; VGPRBlocks: 5
; NumSGPRsForWavesPerEU: 28
; NumVGPRsForWavesPerEU: 22
; Occupancy: 10
; WaveLimiterHint : 0
; COMPUTE_PGM_RSRC2:SCRATCH_EN: 0
; COMPUTE_PGM_RSRC2:USER_SGPR: 6
; COMPUTE_PGM_RSRC2:TRAP_HANDLER: 0
; COMPUTE_PGM_RSRC2:TGID_X_EN: 1
; COMPUTE_PGM_RSRC2:TGID_Y_EN: 0
; COMPUTE_PGM_RSRC2:TGID_Z_EN: 0
; COMPUTE_PGM_RSRC2:TIDIG_COMP_CNT: 1
	.section	.AMDGPU.gpr_maximums,"",@progbits
	.set amdgpu.max_num_vgpr, 0
	.set amdgpu.max_num_agpr, 0
	.set amdgpu.max_num_sgpr, 0
	.section	.AMDGPU.csdata,"",@progbits
	.type	__hip_cuid_1fff72e44dcb2d43,@object ; @__hip_cuid_1fff72e44dcb2d43
	.section	.bss,"aw",@nobits
	.globl	__hip_cuid_1fff72e44dcb2d43
__hip_cuid_1fff72e44dcb2d43:
	.byte	0                               ; 0x0
	.size	__hip_cuid_1fff72e44dcb2d43, 1

	.ident	"AMD clang version 22.0.0git (https://github.com/RadeonOpenCompute/llvm-project roc-7.2.4 26084 f58b06dce1f9c15707c5f808fd002e18c2accf7e)"
	.section	".note.GNU-stack","",@progbits
	.addrsig
	.addrsig_sym __hip_cuid_1fff72e44dcb2d43
	.amdgpu_metadata
---
amdhsa.kernels:
  - .args:
      - .actual_access:  read_only
        .address_space:  global
        .offset:         0
        .size:           8
        .value_kind:     global_buffer
      - .actual_access:  write_only
        .address_space:  global
        .offset:         8
        .size:           8
        .value_kind:     global_buffer
      - .actual_access:  write_only
        .address_space:  global
        .offset:         16
        .size:           8
        .value_kind:     global_buffer
      - .offset:         24
        .size:           4
        .value_kind:     by_value
      - .offset:         28
        .size:           4
        .value_kind:     by_value
      - .offset:         32
        .size:           4
        .value_kind:     by_value
      - .offset:         40
        .size:           4
        .value_kind:     hidden_block_count_x
      - .offset:         44
        .size:           4
        .value_kind:     hidden_block_count_y
      - .offset:         48
        .size:           4
        .value_kind:     hidden_block_count_z
      - .offset:         52
        .size:           2
        .value_kind:     hidden_group_size_x
      - .offset:         54
        .size:           2
        .value_kind:     hidden_group_size_y
      - .offset:         56
        .size:           2
        .value_kind:     hidden_group_size_z
      - .offset:         58
        .size:           2
        .value_kind:     hidden_remainder_x
      - .offset:         60
        .size:           2
        .value_kind:     hidden_remainder_y
      - .offset:         62
        .size:           2
        .value_kind:     hidden_remainder_z
      - .offset:         80
        .size:           8
        .value_kind:     hidden_global_offset_x
      - .offset:         88
        .size:           8
        .value_kind:     hidden_global_offset_y
      - .offset:         96
        .size:           8
        .value_kind:     hidden_global_offset_z
      - .offset:         104
        .size:           2
        .value_kind:     hidden_grid_dims
    .group_segment_fixed_size: 640
    .kernarg_segment_align: 8
    .kernarg_segment_size: 296
    .language:       OpenCL C
    .language_version:
      - 2
      - 0
    .max_flat_workgroup_size: 1024
    .name:           _Z14welford_kernelIfffEvPKT_PT1_S4_iii
    .private_segment_fixed_size: 0
    .sgpr_count:     28
    .sgpr_spill_count: 0
    .symbol:         _Z14welford_kernelIfffEvPKT_PT1_S4_iii.kd
    .uniform_work_group_size: 1
    .uses_dynamic_stack: false
    .vgpr_count:     22
    .vgpr_spill_count: 0
    .wavefront_size: 64
amdhsa.target:   amdgcn-amd-amdhsa--gfx906
amdhsa.version:
  - 1
  - 2
...

	.end_amdgpu_metadata
